;; amdgpu-corpus repo=ROCm/rocFFT kind=compiled arch=gfx906 opt=O3
	.text
	.amdgcn_target "amdgcn-amd-amdhsa--gfx906"
	.amdhsa_code_object_version 6
	.protected	fft_rtc_back_len1280_factors_16_5_16_wgs_80_tpt_80_halfLds_dp_ip_CI_unitstride_sbrr_C2R_dirReg ; -- Begin function fft_rtc_back_len1280_factors_16_5_16_wgs_80_tpt_80_halfLds_dp_ip_CI_unitstride_sbrr_C2R_dirReg
	.globl	fft_rtc_back_len1280_factors_16_5_16_wgs_80_tpt_80_halfLds_dp_ip_CI_unitstride_sbrr_C2R_dirReg
	.p2align	8
	.type	fft_rtc_back_len1280_factors_16_5_16_wgs_80_tpt_80_halfLds_dp_ip_CI_unitstride_sbrr_C2R_dirReg,@function
fft_rtc_back_len1280_factors_16_5_16_wgs_80_tpt_80_halfLds_dp_ip_CI_unitstride_sbrr_C2R_dirReg: ; @fft_rtc_back_len1280_factors_16_5_16_wgs_80_tpt_80_halfLds_dp_ip_CI_unitstride_sbrr_C2R_dirReg
; %bb.0:
	s_load_dwordx2 s[2:3], s[4:5], 0x50
	s_load_dwordx4 s[8:11], s[4:5], 0x0
	s_load_dwordx2 s[12:13], s[4:5], 0x18
	v_mul_u32_u24_e32 v1, 0x334, v0
	v_add_u32_sdwa v5, s6, v1 dst_sel:DWORD dst_unused:UNUSED_PAD src0_sel:DWORD src1_sel:WORD_1
	v_mov_b32_e32 v3, 0
	s_waitcnt lgkmcnt(0)
	v_cmp_lt_u64_e64 s[0:1], s[10:11], 2
	v_mov_b32_e32 v1, 0
	v_mov_b32_e32 v6, v3
	s_and_b64 vcc, exec, s[0:1]
	v_mov_b32_e32 v2, 0
	s_cbranch_vccnz .LBB0_8
; %bb.1:
	s_load_dwordx2 s[0:1], s[4:5], 0x10
	s_add_u32 s6, s12, 8
	s_addc_u32 s7, s13, 0
	v_mov_b32_e32 v1, 0
	v_mov_b32_e32 v2, 0
	s_waitcnt lgkmcnt(0)
	s_add_u32 s14, s0, 8
	s_addc_u32 s15, s1, 0
	s_mov_b64 s[16:17], 1
.LBB0_2:                                ; =>This Inner Loop Header: Depth=1
	s_load_dwordx2 s[18:19], s[14:15], 0x0
                                        ; implicit-def: $vgpr7_vgpr8
	s_waitcnt lgkmcnt(0)
	v_or_b32_e32 v4, s19, v6
	v_cmp_ne_u64_e32 vcc, 0, v[3:4]
	s_and_saveexec_b64 s[0:1], vcc
	s_xor_b64 s[20:21], exec, s[0:1]
	s_cbranch_execz .LBB0_4
; %bb.3:                                ;   in Loop: Header=BB0_2 Depth=1
	v_cvt_f32_u32_e32 v4, s18
	v_cvt_f32_u32_e32 v7, s19
	s_sub_u32 s0, 0, s18
	s_subb_u32 s1, 0, s19
	v_mac_f32_e32 v4, 0x4f800000, v7
	v_rcp_f32_e32 v4, v4
	v_mul_f32_e32 v4, 0x5f7ffffc, v4
	v_mul_f32_e32 v7, 0x2f800000, v4
	v_trunc_f32_e32 v7, v7
	v_mac_f32_e32 v4, 0xcf800000, v7
	v_cvt_u32_f32_e32 v7, v7
	v_cvt_u32_f32_e32 v4, v4
	v_mul_lo_u32 v8, s0, v7
	v_mul_hi_u32 v9, s0, v4
	v_mul_lo_u32 v11, s1, v4
	v_mul_lo_u32 v10, s0, v4
	v_add_u32_e32 v8, v9, v8
	v_add_u32_e32 v8, v8, v11
	v_mul_hi_u32 v9, v4, v10
	v_mul_lo_u32 v11, v4, v8
	v_mul_hi_u32 v13, v4, v8
	v_mul_hi_u32 v12, v7, v10
	v_mul_lo_u32 v10, v7, v10
	v_mul_hi_u32 v14, v7, v8
	v_add_co_u32_e32 v9, vcc, v9, v11
	v_addc_co_u32_e32 v11, vcc, 0, v13, vcc
	v_mul_lo_u32 v8, v7, v8
	v_add_co_u32_e32 v9, vcc, v9, v10
	v_addc_co_u32_e32 v9, vcc, v11, v12, vcc
	v_addc_co_u32_e32 v10, vcc, 0, v14, vcc
	v_add_co_u32_e32 v8, vcc, v9, v8
	v_addc_co_u32_e32 v9, vcc, 0, v10, vcc
	v_add_co_u32_e32 v4, vcc, v4, v8
	v_addc_co_u32_e32 v7, vcc, v7, v9, vcc
	v_mul_lo_u32 v8, s0, v7
	v_mul_hi_u32 v9, s0, v4
	v_mul_lo_u32 v10, s1, v4
	v_mul_lo_u32 v11, s0, v4
	v_add_u32_e32 v8, v9, v8
	v_add_u32_e32 v8, v8, v10
	v_mul_lo_u32 v12, v4, v8
	v_mul_hi_u32 v13, v4, v11
	v_mul_hi_u32 v14, v4, v8
	;; [unrolled: 1-line block ×3, first 2 shown]
	v_mul_lo_u32 v11, v7, v11
	v_mul_hi_u32 v9, v7, v8
	v_add_co_u32_e32 v12, vcc, v13, v12
	v_addc_co_u32_e32 v13, vcc, 0, v14, vcc
	v_mul_lo_u32 v8, v7, v8
	v_add_co_u32_e32 v11, vcc, v12, v11
	v_addc_co_u32_e32 v10, vcc, v13, v10, vcc
	v_addc_co_u32_e32 v9, vcc, 0, v9, vcc
	v_add_co_u32_e32 v8, vcc, v10, v8
	v_addc_co_u32_e32 v9, vcc, 0, v9, vcc
	v_add_co_u32_e32 v4, vcc, v4, v8
	v_addc_co_u32_e32 v9, vcc, v7, v9, vcc
	v_mad_u64_u32 v[7:8], s[0:1], v5, v9, 0
	v_mul_hi_u32 v10, v5, v4
	v_add_co_u32_e32 v11, vcc, v10, v7
	v_addc_co_u32_e32 v12, vcc, 0, v8, vcc
	v_mad_u64_u32 v[7:8], s[0:1], v6, v4, 0
	v_mad_u64_u32 v[9:10], s[0:1], v6, v9, 0
	v_add_co_u32_e32 v4, vcc, v11, v7
	v_addc_co_u32_e32 v4, vcc, v12, v8, vcc
	v_addc_co_u32_e32 v7, vcc, 0, v10, vcc
	v_add_co_u32_e32 v4, vcc, v4, v9
	v_addc_co_u32_e32 v9, vcc, 0, v7, vcc
	v_mul_lo_u32 v10, s19, v4
	v_mul_lo_u32 v11, s18, v9
	v_mad_u64_u32 v[7:8], s[0:1], s18, v4, 0
	v_add3_u32 v8, v8, v11, v10
	v_sub_u32_e32 v10, v6, v8
	v_mov_b32_e32 v11, s19
	v_sub_co_u32_e32 v7, vcc, v5, v7
	v_subb_co_u32_e64 v10, s[0:1], v10, v11, vcc
	v_subrev_co_u32_e64 v11, s[0:1], s18, v7
	v_subbrev_co_u32_e64 v10, s[0:1], 0, v10, s[0:1]
	v_cmp_le_u32_e64 s[0:1], s19, v10
	v_cndmask_b32_e64 v12, 0, -1, s[0:1]
	v_cmp_le_u32_e64 s[0:1], s18, v11
	v_cndmask_b32_e64 v11, 0, -1, s[0:1]
	v_cmp_eq_u32_e64 s[0:1], s19, v10
	v_cndmask_b32_e64 v10, v12, v11, s[0:1]
	v_add_co_u32_e64 v11, s[0:1], 2, v4
	v_addc_co_u32_e64 v12, s[0:1], 0, v9, s[0:1]
	v_add_co_u32_e64 v13, s[0:1], 1, v4
	v_addc_co_u32_e64 v14, s[0:1], 0, v9, s[0:1]
	v_subb_co_u32_e32 v8, vcc, v6, v8, vcc
	v_cmp_ne_u32_e64 s[0:1], 0, v10
	v_cmp_le_u32_e32 vcc, s19, v8
	v_cndmask_b32_e64 v10, v14, v12, s[0:1]
	v_cndmask_b32_e64 v12, 0, -1, vcc
	v_cmp_le_u32_e32 vcc, s18, v7
	v_cndmask_b32_e64 v7, 0, -1, vcc
	v_cmp_eq_u32_e32 vcc, s19, v8
	v_cndmask_b32_e32 v7, v12, v7, vcc
	v_cmp_ne_u32_e32 vcc, 0, v7
	v_cndmask_b32_e64 v7, v13, v11, s[0:1]
	v_cndmask_b32_e32 v8, v9, v10, vcc
	v_cndmask_b32_e32 v7, v4, v7, vcc
.LBB0_4:                                ;   in Loop: Header=BB0_2 Depth=1
	s_andn2_saveexec_b64 s[0:1], s[20:21]
	s_cbranch_execz .LBB0_6
; %bb.5:                                ;   in Loop: Header=BB0_2 Depth=1
	v_cvt_f32_u32_e32 v4, s18
	s_sub_i32 s20, 0, s18
	v_rcp_iflag_f32_e32 v4, v4
	v_mul_f32_e32 v4, 0x4f7ffffe, v4
	v_cvt_u32_f32_e32 v4, v4
	v_mul_lo_u32 v7, s20, v4
	v_mul_hi_u32 v7, v4, v7
	v_add_u32_e32 v4, v4, v7
	v_mul_hi_u32 v4, v5, v4
	v_mul_lo_u32 v7, v4, s18
	v_add_u32_e32 v8, 1, v4
	v_sub_u32_e32 v7, v5, v7
	v_subrev_u32_e32 v9, s18, v7
	v_cmp_le_u32_e32 vcc, s18, v7
	v_cndmask_b32_e32 v7, v7, v9, vcc
	v_cndmask_b32_e32 v4, v4, v8, vcc
	v_add_u32_e32 v8, 1, v4
	v_cmp_le_u32_e32 vcc, s18, v7
	v_cndmask_b32_e32 v7, v4, v8, vcc
	v_mov_b32_e32 v8, v3
.LBB0_6:                                ;   in Loop: Header=BB0_2 Depth=1
	s_or_b64 exec, exec, s[0:1]
	v_mul_lo_u32 v4, v8, s18
	v_mul_lo_u32 v11, v7, s19
	v_mad_u64_u32 v[9:10], s[0:1], v7, s18, 0
	s_load_dwordx2 s[0:1], s[6:7], 0x0
	s_add_u32 s16, s16, 1
	v_add3_u32 v4, v10, v11, v4
	v_sub_co_u32_e32 v5, vcc, v5, v9
	v_subb_co_u32_e32 v4, vcc, v6, v4, vcc
	s_waitcnt lgkmcnt(0)
	v_mul_lo_u32 v4, s0, v4
	v_mul_lo_u32 v6, s1, v5
	v_mad_u64_u32 v[1:2], s[0:1], s0, v5, v[1:2]
	s_addc_u32 s17, s17, 0
	s_add_u32 s6, s6, 8
	v_add3_u32 v2, v6, v2, v4
	v_mov_b32_e32 v4, s10
	v_mov_b32_e32 v5, s11
	s_addc_u32 s7, s7, 0
	v_cmp_ge_u64_e32 vcc, s[16:17], v[4:5]
	s_add_u32 s14, s14, 8
	s_addc_u32 s15, s15, 0
	s_cbranch_vccnz .LBB0_9
; %bb.7:                                ;   in Loop: Header=BB0_2 Depth=1
	v_mov_b32_e32 v5, v7
	v_mov_b32_e32 v6, v8
	s_branch .LBB0_2
.LBB0_8:
	v_mov_b32_e32 v8, v6
	v_mov_b32_e32 v7, v5
.LBB0_9:
	s_lshl_b64 s[0:1], s[10:11], 3
	s_add_u32 s0, s12, s0
	s_addc_u32 s1, s13, s1
	s_load_dwordx2 s[6:7], s[0:1], 0x0
	s_load_dwordx2 s[10:11], s[4:5], 0x20
	s_waitcnt lgkmcnt(0)
	v_mad_u64_u32 v[1:2], s[0:1], s6, v7, v[1:2]
	v_mul_lo_u32 v3, s6, v8
	v_mul_lo_u32 v4, s7, v7
	s_mov_b32 s0, 0x3333334
	v_mul_hi_u32 v5, v0, s0
	v_cmp_gt_u64_e64 s[0:1], s[10:11], v[7:8]
	v_add3_u32 v2, v4, v2, v3
	v_lshlrev_b64 v[100:101], 4, v[1:2]
	v_mul_u32_u24_e32 v3, 0x50, v5
	v_sub_u32_e32 v98, v0, v3
	s_and_saveexec_b64 s[4:5], s[0:1]
	s_cbranch_execz .LBB0_13
; %bb.10:
	v_mov_b32_e32 v99, 0
	v_mov_b32_e32 v0, s3
	v_add_co_u32_e32 v1, vcc, s2, v100
	v_lshlrev_b64 v[2:3], 4, v[98:99]
	v_addc_co_u32_e32 v0, vcc, v0, v101, vcc
	v_add_co_u32_e32 v26, vcc, v1, v2
	v_addc_co_u32_e32 v27, vcc, v0, v3, vcc
	s_movk_i32 s6, 0x1000
	v_or_b32_e32 v18, 0x280, v98
	v_mov_b32_e32 v19, v99
	v_lshlrev_b64 v[18:19], 4, v[18:19]
	v_add_co_u32_e32 v66, vcc, s6, v26
	v_addc_co_u32_e32 v67, vcc, 0, v27, vcc
	v_add_co_u32_e32 v68, vcc, v1, v18
	s_movk_i32 s7, 0x2000
	v_addc_co_u32_e32 v69, vcc, v0, v19, vcc
	v_add_co_u32_e32 v70, vcc, s7, v26
	s_movk_i32 s10, 0x3000
	v_addc_co_u32_e32 v71, vcc, 0, v27, vcc
	v_add_co_u32_e32 v72, vcc, s10, v26
	v_addc_co_u32_e32 v73, vcc, 0, v27, vcc
	v_add_co_u32_e32 v74, vcc, 0x4000, v26
	global_load_dwordx4 v[2:5], v[26:27], off
	global_load_dwordx4 v[6:9], v[26:27], off offset:1280
	global_load_dwordx4 v[10:13], v[26:27], off offset:2560
	;; [unrolled: 1-line block ×5, first 2 shown]
	v_addc_co_u32_e32 v75, vcc, 0, v27, vcc
	global_load_dwordx4 v[26:29], v[66:67], off offset:3584
	global_load_dwordx4 v[30:33], v[70:71], off offset:768
	global_load_dwordx4 v[34:37], v[68:69], off
	global_load_dwordx4 v[38:41], v[70:71], off offset:3328
	global_load_dwordx4 v[42:45], v[72:73], off offset:512
	global_load_dwordx4 v[46:49], v[72:73], off offset:1792
	global_load_dwordx4 v[50:53], v[72:73], off offset:3072
	global_load_dwordx4 v[54:57], v[74:75], off offset:256
	global_load_dwordx4 v[58:61], v[74:75], off offset:1536
	global_load_dwordx4 v[62:65], v[74:75], off offset:2816
	s_movk_i32 s6, 0x4f
	v_lshl_add_u32 v66, v98, 4, 0
	v_cmp_eq_u32_e32 vcc, s6, v98
	s_waitcnt vmcnt(15)
	ds_write_b128 v66, v[2:5]
	s_waitcnt vmcnt(14)
	ds_write_b128 v66, v[6:9] offset:1280
	s_waitcnt vmcnt(13)
	ds_write_b128 v66, v[10:13] offset:2560
	;; [unrolled: 2-line block ×15, first 2 shown]
	s_and_saveexec_b64 s[6:7], vcc
	s_cbranch_execz .LBB0_12
; %bb.11:
	v_add_co_u32_e32 v1, vcc, 0x5000, v1
	v_addc_co_u32_e32 v2, vcc, 0, v0, vcc
	global_load_dwordx4 v[0:3], v[1:2], off
	v_mov_b32_e32 v98, 0x4f
	s_waitcnt vmcnt(0)
	ds_write_b128 v99, v[0:3] offset:20480
.LBB0_12:
	s_or_b64 exec, exec, s[6:7]
.LBB0_13:
	s_or_b64 exec, exec, s[4:5]
	v_lshlrev_b32_e32 v0, 4, v98
	v_add_u32_e32 v110, 0, v0
	s_waitcnt lgkmcnt(0)
	s_barrier
	v_sub_u32_e32 v10, 0, v0
	ds_read_b64 v[6:7], v110
	ds_read_b64 v[8:9], v10 offset:20480
	s_add_u32 s6, s8, 0x4f00
	s_addc_u32 s7, s9, 0
	v_cmp_ne_u32_e32 vcc, 0, v98
                                        ; implicit-def: $vgpr4_vgpr5
	s_waitcnt lgkmcnt(0)
	v_add_f64 v[0:1], v[6:7], v[8:9]
	v_add_f64 v[2:3], v[6:7], -v[8:9]
	s_and_saveexec_b64 s[4:5], vcc
	s_xor_b64 s[4:5], exec, s[4:5]
	s_cbranch_execz .LBB0_15
; %bb.14:
	v_mov_b32_e32 v99, 0
	v_lshlrev_b64 v[0:1], 4, v[98:99]
	v_mov_b32_e32 v2, s7
	v_add_co_u32_e32 v0, vcc, s6, v0
	v_addc_co_u32_e32 v1, vcc, v2, v1, vcc
	global_load_dwordx4 v[2:5], v[0:1], off
	ds_read_b64 v[0:1], v10 offset:20488
	ds_read_b64 v[11:12], v110 offset:8
	v_add_f64 v[13:14], v[6:7], v[8:9]
	v_add_f64 v[8:9], v[6:7], -v[8:9]
	s_waitcnt lgkmcnt(0)
	v_add_f64 v[15:16], v[0:1], v[11:12]
	v_add_f64 v[0:1], v[11:12], -v[0:1]
	s_waitcnt vmcnt(0)
	v_fma_f64 v[6:7], -v[8:9], v[4:5], v[13:14]
	v_fma_f64 v[11:12], v[15:16], v[4:5], -v[0:1]
	v_fma_f64 v[13:14], v[8:9], v[4:5], v[13:14]
	v_fma_f64 v[17:18], v[15:16], v[4:5], v[0:1]
	;; [unrolled: 1-line block ×4, first 2 shown]
	v_fma_f64 v[0:1], -v[15:16], v[2:3], v[13:14]
	v_fma_f64 v[2:3], v[8:9], v[2:3], v[17:18]
	ds_write_b128 v10, v[4:7] offset:20480
	v_mov_b32_e32 v4, v98
	v_mov_b32_e32 v5, v99
.LBB0_15:
	s_andn2_saveexec_b64 s[4:5], s[4:5]
	s_cbranch_execz .LBB0_17
; %bb.16:
	v_mov_b32_e32 v8, 0
	ds_read_b128 v[4:7], v8 offset:10240
	s_waitcnt lgkmcnt(0)
	v_add_f64 v[11:12], v[4:5], v[4:5]
	v_mul_f64 v[13:14], v[6:7], -2.0
	v_mov_b32_e32 v4, 0
	v_mov_b32_e32 v5, 0
	ds_write_b128 v8, v[11:14] offset:10240
.LBB0_17:
	s_or_b64 exec, exec, s[4:5]
	v_lshlrev_b64 v[4:5], 4, v[4:5]
	v_mov_b32_e32 v6, s7
	v_add_co_u32_e32 v4, vcc, s6, v4
	v_addc_co_u32_e32 v5, vcc, v6, v5, vcc
	global_load_dwordx4 v[6:9], v[4:5], off offset:1280
	global_load_dwordx4 v[11:14], v[4:5], off offset:2560
	ds_write_b128 v110, v[0:3]
	ds_read_b128 v[0:3], v110 offset:1280
	ds_read_b128 v[15:18], v10 offset:19200
	global_load_dwordx4 v[19:22], v[4:5], off offset:3840
	s_movk_i32 s4, 0x1000
	s_mov_b32 s10, 0x667f3bcd
	s_mov_b32 s11, 0xbfe6a09e
	s_waitcnt lgkmcnt(0)
	v_add_f64 v[23:24], v[0:1], v[15:16]
	v_add_f64 v[25:26], v[17:18], v[2:3]
	v_add_f64 v[27:28], v[0:1], -v[15:16]
	v_add_f64 v[0:1], v[2:3], -v[17:18]
	s_mov_b32 s13, 0x3fe6a09e
	s_mov_b32 s12, s10
	s_mov_b32 s14, 0xcf328d46
	s_mov_b32 s15, 0xbfed906b
	s_mov_b32 s17, 0x3fed906b
	s_mov_b32 s16, s14
	s_mov_b32 s7, 0xbfd87de2
	s_movk_i32 s18, 0xf0
	s_waitcnt vmcnt(2)
	v_fma_f64 v[2:3], v[27:28], v[8:9], v[23:24]
	v_fma_f64 v[15:16], v[25:26], v[8:9], v[0:1]
	v_fma_f64 v[17:18], -v[27:28], v[8:9], v[23:24]
	v_fma_f64 v[8:9], v[25:26], v[8:9], -v[0:1]
	v_add_co_u32_e32 v23, vcc, s4, v4
	v_addc_co_u32_e32 v24, vcc, 0, v5, vcc
	v_fma_f64 v[0:1], -v[25:26], v[6:7], v[2:3]
	v_fma_f64 v[2:3], v[27:28], v[6:7], v[15:16]
	v_fma_f64 v[15:16], v[25:26], v[6:7], v[17:18]
	;; [unrolled: 1-line block ×3, first 2 shown]
	s_movk_i32 s4, 0x2000
	v_add_co_u32_e32 v4, vcc, s4, v4
	ds_write_b128 v110, v[0:3] offset:1280
	ds_write_b128 v10, v[15:18] offset:19200
	ds_read_b128 v[0:3], v110 offset:2560
	ds_read_b128 v[6:9], v10 offset:17920
	global_load_dwordx4 v[15:18], v[23:24], off offset:1024
	v_addc_co_u32_e32 v5, vcc, 0, v5, vcc
	s_mov_b32 s4, 0xa6aea964
	s_waitcnt lgkmcnt(0)
	v_add_f64 v[25:26], v[0:1], v[6:7]
	v_add_f64 v[27:28], v[8:9], v[2:3]
	v_add_f64 v[29:30], v[0:1], -v[6:7]
	v_add_f64 v[0:1], v[2:3], -v[8:9]
	s_mov_b32 s5, 0x3fd87de2
	s_mov_b32 s6, s4
	v_cmp_gt_u32_e32 vcc, 16, v98
	s_waitcnt vmcnt(2)
	v_fma_f64 v[2:3], v[29:30], v[13:14], v[25:26]
	v_fma_f64 v[6:7], v[27:28], v[13:14], v[0:1]
	v_fma_f64 v[8:9], -v[29:30], v[13:14], v[25:26]
	v_fma_f64 v[13:14], v[27:28], v[13:14], -v[0:1]
	v_fma_f64 v[0:1], -v[27:28], v[11:12], v[2:3]
	v_fma_f64 v[2:3], v[29:30], v[11:12], v[6:7]
	v_fma_f64 v[6:7], v[27:28], v[11:12], v[8:9]
	v_fma_f64 v[8:9], v[29:30], v[11:12], v[13:14]
	ds_write_b128 v110, v[0:3] offset:2560
	ds_write_b128 v10, v[6:9] offset:17920
	ds_read_b128 v[0:3], v110 offset:3840
	ds_read_b128 v[6:9], v10 offset:16640
	global_load_dwordx4 v[11:14], v[23:24], off offset:2304
	s_waitcnt lgkmcnt(0)
	v_add_f64 v[25:26], v[0:1], v[6:7]
	v_add_f64 v[27:28], v[8:9], v[2:3]
	v_add_f64 v[29:30], v[0:1], -v[6:7]
	v_add_f64 v[0:1], v[2:3], -v[8:9]
	s_waitcnt vmcnt(2)
	v_fma_f64 v[2:3], v[29:30], v[21:22], v[25:26]
	v_fma_f64 v[6:7], v[27:28], v[21:22], v[0:1]
	v_fma_f64 v[8:9], -v[29:30], v[21:22], v[25:26]
	v_fma_f64 v[21:22], v[27:28], v[21:22], -v[0:1]
	v_fma_f64 v[0:1], -v[27:28], v[19:20], v[2:3]
	v_fma_f64 v[2:3], v[29:30], v[19:20], v[6:7]
	v_fma_f64 v[6:7], v[27:28], v[19:20], v[8:9]
	v_fma_f64 v[8:9], v[29:30], v[19:20], v[21:22]
	ds_write_b128 v110, v[0:3] offset:3840
	ds_write_b128 v10, v[6:9] offset:16640
	ds_read_b128 v[0:3], v110 offset:5120
	ds_read_b128 v[6:9], v10 offset:15360
	global_load_dwordx4 v[19:22], v[23:24], off offset:3584
	s_waitcnt lgkmcnt(0)
	v_add_f64 v[23:24], v[0:1], v[6:7]
	v_add_f64 v[25:26], v[8:9], v[2:3]
	v_add_f64 v[27:28], v[0:1], -v[6:7]
	v_add_f64 v[0:1], v[2:3], -v[8:9]
	;; [unrolled: 19-line block ×3, first 2 shown]
	s_waitcnt vmcnt(2)
	v_fma_f64 v[2:3], v[6:7], v[13:14], v[4:5]
	v_fma_f64 v[8:9], v[23:24], v[13:14], v[0:1]
	v_fma_f64 v[4:5], -v[6:7], v[13:14], v[4:5]
	v_fma_f64 v[13:14], v[23:24], v[13:14], -v[0:1]
	v_fma_f64 v[0:1], -v[23:24], v[11:12], v[2:3]
	v_fma_f64 v[2:3], v[6:7], v[11:12], v[8:9]
	v_fma_f64 v[4:5], v[23:24], v[11:12], v[4:5]
	;; [unrolled: 1-line block ×3, first 2 shown]
	ds_write_b128 v110, v[0:3] offset:6400
	ds_write_b128 v10, v[4:7] offset:14080
	ds_read_b128 v[0:3], v110 offset:7680
	ds_read_b128 v[4:7], v10 offset:12800
	s_waitcnt lgkmcnt(0)
	v_add_f64 v[8:9], v[0:1], v[4:5]
	v_add_f64 v[11:12], v[6:7], v[2:3]
	v_add_f64 v[13:14], v[0:1], -v[4:5]
	v_add_f64 v[0:1], v[2:3], -v[6:7]
	s_waitcnt vmcnt(1)
	v_fma_f64 v[2:3], v[13:14], v[21:22], v[8:9]
	v_fma_f64 v[4:5], v[11:12], v[21:22], v[0:1]
	v_fma_f64 v[6:7], -v[13:14], v[21:22], v[8:9]
	v_fma_f64 v[8:9], v[11:12], v[21:22], -v[0:1]
	v_fma_f64 v[0:1], -v[11:12], v[19:20], v[2:3]
	v_fma_f64 v[2:3], v[13:14], v[19:20], v[4:5]
	v_fma_f64 v[4:5], v[11:12], v[19:20], v[6:7]
	;; [unrolled: 1-line block ×3, first 2 shown]
	ds_write_b128 v110, v[0:3] offset:7680
	ds_write_b128 v10, v[4:7] offset:12800
	ds_read_b128 v[0:3], v110 offset:8960
	ds_read_b128 v[4:7], v10 offset:11520
	s_waitcnt lgkmcnt(0)
	v_add_f64 v[8:9], v[0:1], v[4:5]
	v_add_f64 v[11:12], v[6:7], v[2:3]
	v_add_f64 v[13:14], v[0:1], -v[4:5]
	v_add_f64 v[0:1], v[2:3], -v[6:7]
	s_waitcnt vmcnt(0)
	v_fma_f64 v[2:3], v[13:14], v[17:18], v[8:9]
	v_fma_f64 v[4:5], v[11:12], v[17:18], v[0:1]
	v_fma_f64 v[6:7], -v[13:14], v[17:18], v[8:9]
	v_fma_f64 v[8:9], v[11:12], v[17:18], -v[0:1]
	v_fma_f64 v[0:1], -v[11:12], v[15:16], v[2:3]
	v_fma_f64 v[2:3], v[13:14], v[15:16], v[4:5]
	v_fma_f64 v[5:6], v[11:12], v[15:16], v[6:7]
	;; [unrolled: 1-line block ×3, first 2 shown]
	ds_write_b128 v110, v[0:3] offset:8960
	ds_write_b128 v10, v[5:8] offset:11520
	s_waitcnt lgkmcnt(0)
	s_barrier
	s_barrier
	ds_read_b128 v[0:3], v110
	ds_read_b128 v[5:8], v110 offset:1280
	ds_read_b128 v[9:12], v110 offset:2560
	ds_read_b128 v[13:16], v110 offset:3840
	ds_read_b128 v[17:20], v110 offset:5120
	ds_read_b128 v[21:24], v110 offset:6400
	ds_read_b128 v[25:28], v110 offset:7680
	ds_read_b128 v[29:32], v110 offset:8960
	ds_read_b128 v[33:36], v110 offset:10240
	ds_read_b128 v[37:40], v110 offset:11520
	ds_read_b128 v[41:44], v110 offset:12800
	ds_read_b128 v[45:48], v110 offset:14080
	ds_read_b128 v[49:52], v110 offset:15360
	ds_read_b128 v[53:56], v110 offset:16640
	ds_read_b128 v[57:60], v110 offset:17920
	ds_read_b128 v[61:64], v110 offset:19200
	s_waitcnt lgkmcnt(7)
	v_add_f64 v[33:34], v[0:1], -v[33:34]
	v_add_f64 v[35:36], v[2:3], -v[35:36]
	s_waitcnt lgkmcnt(3)
	v_add_f64 v[49:50], v[17:18], -v[49:50]
	v_add_f64 v[51:52], v[19:20], -v[51:52]
	;; [unrolled: 1-line block ×4, first 2 shown]
	s_waitcnt lgkmcnt(1)
	v_add_f64 v[57:58], v[25:26], -v[57:58]
	v_add_f64 v[59:60], v[27:28], -v[59:60]
	;; [unrolled: 1-line block ×8, first 2 shown]
	s_waitcnt lgkmcnt(0)
	v_add_f64 v[61:62], v[29:30], -v[61:62]
	v_add_f64 v[63:64], v[31:32], -v[63:64]
	v_fma_f64 v[0:1], v[0:1], 2.0, -v[33:34]
	v_fma_f64 v[2:3], v[2:3], 2.0, -v[35:36]
	;; [unrolled: 1-line block ×12, first 2 shown]
	v_add_f64 v[51:52], v[33:34], v[51:52]
	v_add_f64 v[49:50], v[35:36], -v[49:50]
	v_add_f64 v[59:60], v[41:42], v[59:60]
	v_add_f64 v[57:58], v[43:44], -v[57:58]
	;; [unrolled: 2-line block ×4, first 2 shown]
	v_fma_f64 v[5:6], v[5:6], 2.0, -v[37:38]
	v_fma_f64 v[7:8], v[7:8], 2.0, -v[39:40]
	;; [unrolled: 1-line block ×4, first 2 shown]
	v_add_f64 v[17:18], v[0:1], -v[17:18]
	v_add_f64 v[19:20], v[2:3], -v[19:20]
	v_fma_f64 v[33:34], v[33:34], 2.0, -v[51:52]
	v_fma_f64 v[35:36], v[35:36], 2.0, -v[49:50]
	v_add_f64 v[25:26], v[9:10], -v[25:26]
	v_add_f64 v[27:28], v[11:12], -v[27:28]
	v_fma_f64 v[41:42], v[41:42], 2.0, -v[59:60]
	v_fma_f64 v[43:44], v[43:44], 2.0, -v[57:58]
	;; [unrolled: 1-line block ×6, first 2 shown]
	v_add_f64 v[21:22], v[5:6], -v[21:22]
	v_add_f64 v[23:24], v[7:8], -v[23:24]
	;; [unrolled: 1-line block ×4, first 2 shown]
	v_fma_f64 v[65:66], v[59:60], s[12:13], v[51:52]
	v_fma_f64 v[67:68], v[57:58], s[12:13], v[49:50]
	;; [unrolled: 1-line block ×4, first 2 shown]
	v_fma_f64 v[9:10], v[9:10], 2.0, -v[25:26]
	v_fma_f64 v[11:12], v[11:12], 2.0, -v[27:28]
	v_fma_f64 v[73:74], v[41:42], s[10:11], v[33:34]
	v_fma_f64 v[75:76], v[43:44], s[10:11], v[35:36]
	v_add_f64 v[77:78], v[17:18], v[27:28]
	v_add_f64 v[79:80], v[19:20], -v[25:26]
	v_fma_f64 v[25:26], v[45:46], s[10:11], v[37:38]
	v_fma_f64 v[27:28], v[47:48], s[10:11], v[39:40]
	v_fma_f64 v[0:1], v[0:1], 2.0, -v[17:18]
	v_fma_f64 v[2:3], v[2:3], 2.0, -v[19:20]
	;; [unrolled: 1-line block ×6, first 2 shown]
	v_add_f64 v[31:32], v[21:22], v[31:32]
	v_add_f64 v[29:30], v[23:24], -v[29:30]
	v_fma_f64 v[57:58], v[57:58], s[12:13], v[65:66]
	v_fma_f64 v[59:60], v[59:60], s[10:11], v[67:68]
	;; [unrolled: 1-line block ×8, first 2 shown]
	v_add_f64 v[65:66], v[0:1], -v[9:10]
	v_add_f64 v[67:68], v[2:3], -v[11:12]
	;; [unrolled: 1-line block ×4, first 2 shown]
	v_fma_f64 v[41:42], v[17:18], 2.0, -v[77:78]
	v_fma_f64 v[43:44], v[19:20], 2.0, -v[79:80]
	;; [unrolled: 1-line block ×8, first 2 shown]
	v_fma_f64 v[13:14], v[31:32], s[12:13], v[77:78]
	v_fma_f64 v[15:16], v[29:30], s[12:13], v[79:80]
	;; [unrolled: 1-line block ×4, first 2 shown]
	v_fma_f64 v[73:74], v[33:34], 2.0, -v[69:70]
	v_fma_f64 v[75:76], v[35:36], 2.0, -v[71:72]
	;; [unrolled: 1-line block ×8, first 2 shown]
	v_fma_f64 v[37:38], v[19:20], s[10:11], v[41:42]
	v_fma_f64 v[39:40], v[17:18], s[10:11], v[43:44]
	;; [unrolled: 1-line block ×6, first 2 shown]
	v_add_f64 v[5:6], v[65:66], v[11:12]
	v_add_f64 v[7:8], v[67:68], -v[9:10]
	v_fma_f64 v[9:10], v[29:30], s[12:13], v[13:14]
	v_fma_f64 v[11:12], v[31:32], s[10:11], v[15:16]
	;; [unrolled: 1-line block ×6, first 2 shown]
	v_add_f64 v[13:14], v[53:54], -v[33:34]
	v_add_f64 v[15:16], v[55:56], -v[35:36]
	v_fma_f64 v[17:18], v[17:18], s[12:13], v[37:38]
	v_fma_f64 v[19:20], v[19:20], s[10:11], v[39:40]
	;; [unrolled: 1-line block ×6, first 2 shown]
	v_mad_u32_u24 v4, v98, s18, v110
	s_barrier
	v_fma_f64 v[25:26], v[65:66], 2.0, -v[5:6]
	v_fma_f64 v[27:28], v[67:68], 2.0, -v[7:8]
	;; [unrolled: 1-line block ×4, first 2 shown]
	ds_write_b128 v4, v[5:8] offset:192
	ds_write_b128 v4, v[9:12] offset:224
	;; [unrolled: 1-line block ×3, first 2 shown]
	v_fma_f64 v[9:10], v[83:84], s[4:5], v[61:62]
	v_fma_f64 v[11:12], v[81:82], s[6:7], v[63:64]
	v_fma_f64 v[37:38], v[57:58], 2.0, -v[0:1]
	v_fma_f64 v[39:40], v[59:60], 2.0, -v[2:3]
	;; [unrolled: 1-line block ×10, first 2 shown]
	ds_write_b128 v4, v[25:28] offset:64
	ds_write_b128 v4, v[33:36] offset:96
	;; [unrolled: 1-line block ×5, first 2 shown]
	v_fma_f64 v[13:14], v[73:74], 2.0, -v[9:10]
	v_fma_f64 v[15:16], v[75:76], 2.0, -v[11:12]
	ds_write_b128 v4, v[21:24] offset:176
	ds_write_b128 v4, v[29:32] offset:208
	ds_write_b128 v4, v[5:8]
	ds_write_b128 v4, v[41:44] offset:32
	ds_write_b128 v4, v[45:48] offset:48
	;; [unrolled: 1-line block ×5, first 2 shown]
	s_waitcnt lgkmcnt(0)
	s_barrier
	ds_read_b128 v[58:61], v110
	ds_read_b128 v[52:55], v110 offset:1280
	ds_read_b128 v[40:43], v110 offset:8192
	;; [unrolled: 1-line block ×14, first 2 shown]
                                        ; implicit-def: $vgpr6_vgpr7
                                        ; implicit-def: $vgpr18_vgpr19
                                        ; implicit-def: $vgpr14_vgpr15
                                        ; implicit-def: $vgpr10_vgpr11
	s_and_saveexec_b64 s[4:5], vcc
	s_cbranch_execz .LBB0_19
; %bb.18:
	s_movk_i32 s6, 0xff10
	v_mad_i32_i24 v4, v98, s6, v4
	ds_read_b128 v[0:3], v110 offset:3840
	ds_read_b128 v[8:11], v4 offset:7936
	;; [unrolled: 1-line block ×5, first 2 shown]
.LBB0_19:
	s_or_b64 exec, exec, s[4:5]
	v_and_b32_e32 v99, 15, v98
	v_lshlrev_b32_e32 v28, 6, v99
	global_load_dwordx2 v[56:57], v28, s[8:9]
	v_lshlrev_b32_e32 v28, 6, v98
	v_and_b32_e32 v113, 0x3c0, v28
	global_load_dwordx4 v[28:31], v113, s[8:9]
	s_mov_b32 s4, 0x134454ff
	s_mov_b32 s5, 0xbfee6f0e
	;; [unrolled: 1-line block ×10, first 2 shown]
	v_add_u32_e32 v112, 0x50, v98
	v_add_u32_e32 v111, 0xa0, v98
	s_waitcnt vmcnt(0) lgkmcnt(8)
	v_mul_f64 v[36:37], v[34:35], v[30:31]
	v_fma_f64 v[114:115], v[32:33], v[56:57], v[36:37]
	v_mul_f64 v[32:33], v[32:33], v[30:31]
	v_fma_f64 v[116:117], v[34:35], v[56:57], -v[32:33]
	global_load_dwordx4 v[32:35], v113, s[8:9] offset:8
	global_load_dwordx4 v[36:39], v113, s[8:9] offset:16
	s_waitcnt vmcnt(0)
	v_mul_f64 v[44:45], v[42:43], v[38:39]
	v_fma_f64 v[118:119], v[40:41], v[34:35], v[44:45]
	v_mul_f64 v[40:41], v[40:41], v[38:39]
	v_fma_f64 v[120:121], v[42:43], v[34:35], -v[40:41]
	global_load_dwordx4 v[40:43], v113, s[8:9] offset:24
	global_load_dwordx4 v[44:47], v113, s[8:9] offset:32
	s_waitcnt vmcnt(0) lgkmcnt(4)
	v_mul_f64 v[48:49], v[26:27], v[46:47]
	v_fma_f64 v[122:123], v[24:25], v[42:43], v[48:49]
	v_mul_f64 v[24:25], v[24:25], v[46:47]
	v_fma_f64 v[124:125], v[26:27], v[42:43], -v[24:25]
	global_load_dwordx4 v[48:51], v113, s[8:9] offset:40
	global_load_dwordx4 v[24:27], v113, s[8:9] offset:48
	s_waitcnt vmcnt(0) lgkmcnt(0)
	s_barrier
	v_mul_f64 v[102:103], v[92:93], v[26:27]
	v_fma_f64 v[126:127], v[90:91], v[50:51], v[102:103]
	v_mul_f64 v[90:91], v[90:91], v[26:27]
	v_fma_f64 v[128:129], v[92:93], v[50:51], -v[90:91]
	v_mul_f64 v[90:91], v[96:97], v[30:31]
	v_fma_f64 v[106:107], v[94:95], v[56:57], v[90:91]
	v_mul_f64 v[90:91], v[94:95], v[30:31]
	v_fma_f64 v[92:93], v[96:97], v[56:57], -v[90:91]
	;; [unrolled: 4-line block ×4, first 2 shown]
	v_mul_f64 v[82:83], v[76:77], v[26:27]
	v_fma_f64 v[108:109], v[74:75], v[50:51], v[82:83]
	v_mul_f64 v[74:75], v[74:75], v[26:27]
	v_add_f64 v[82:83], v[106:107], -v[104:105]
	v_fma_f64 v[102:103], v[76:77], v[50:51], -v[74:75]
	v_mul_f64 v[74:75], v[80:81], v[30:31]
	v_mul_f64 v[30:31], v[78:79], v[30:31]
	v_add_f64 v[76:77], v[128:129], -v[124:125]
	v_fma_f64 v[86:87], v[78:79], v[56:57], v[74:75]
	v_fma_f64 v[30:31], v[80:81], v[56:57], -v[30:31]
	v_mul_f64 v[56:57], v[72:73], v[38:39]
	v_mul_f64 v[38:39], v[70:71], v[38:39]
	v_add_f64 v[78:79], v[124:125], -v[128:129]
	v_add_f64 v[80:81], v[94:95], -v[96:97]
	v_fma_f64 v[88:89], v[70:71], v[34:35], v[56:57]
	v_fma_f64 v[34:35], v[72:73], v[34:35], -v[38:39]
	v_mul_f64 v[38:39], v[68:69], v[46:47]
	v_add_f64 v[70:71], v[122:123], -v[126:127]
	v_add_f64 v[72:73], v[118:119], -v[122:123]
	v_fma_f64 v[90:91], v[66:67], v[42:43], v[38:39]
	v_mul_f64 v[38:39], v[66:67], v[46:47]
	v_add_f64 v[46:47], v[58:59], v[114:115]
	v_add_f64 v[66:67], v[114:115], -v[118:119]
	v_fma_f64 v[38:39], v[68:69], v[42:43], -v[38:39]
	v_add_f64 v[46:47], v[46:47], v[118:119]
	v_mul_f64 v[42:43], v[64:65], v[26:27]
	v_mul_f64 v[26:27], v[62:63], v[26:27]
	v_add_f64 v[68:69], v[126:127], -v[122:123]
	v_add_f64 v[46:47], v[46:47], v[122:123]
	v_fma_f64 v[42:43], v[62:63], v[50:51], v[42:43]
	v_fma_f64 v[26:27], v[64:65], v[50:51], -v[26:27]
	v_add_f64 v[50:51], v[116:117], -v[128:129]
	v_add_f64 v[64:65], v[120:121], -v[124:125]
	v_add_f64 v[66:67], v[66:67], v[68:69]
	v_add_f64 v[68:69], v[118:119], -v[114:115]
	v_add_f64 v[56:57], v[46:47], v[126:127]
	v_add_f64 v[46:47], v[118:119], v[122:123]
	;; [unrolled: 1-line block ×3, first 2 shown]
	v_fma_f64 v[46:47], v[46:47], -0.5, v[58:59]
	v_fma_f64 v[62:63], v[50:51], s[4:5], v[46:47]
	v_fma_f64 v[46:47], v[50:51], s[12:13], v[46:47]
	;; [unrolled: 1-line block ×6, first 2 shown]
	v_add_f64 v[46:47], v[114:115], v[126:127]
	v_fma_f64 v[46:47], v[46:47], -0.5, v[58:59]
	v_fma_f64 v[58:59], v[64:65], s[12:13], v[46:47]
	v_fma_f64 v[46:47], v[64:65], s[4:5], v[46:47]
	;; [unrolled: 1-line block ×4, first 2 shown]
	v_add_f64 v[50:51], v[114:115], -v[126:127]
	v_add_f64 v[114:115], v[108:109], -v[84:85]
	v_fma_f64 v[74:75], v[68:69], s[10:11], v[58:59]
	v_fma_f64 v[70:71], v[68:69], s[10:11], v[46:47]
	v_add_f64 v[46:47], v[60:61], v[116:117]
	v_add_f64 v[68:69], v[116:117], -v[120:121]
	v_add_f64 v[114:115], v[82:83], v[114:115]
	v_add_f64 v[46:47], v[46:47], v[120:121]
	;; [unrolled: 1-line block ×3, first 2 shown]
	v_add_f64 v[76:77], v[120:121], -v[116:117]
	v_add_f64 v[46:47], v[46:47], v[124:125]
	v_add_f64 v[78:79], v[76:77], v[78:79]
	;; [unrolled: 1-line block ×4, first 2 shown]
	v_fma_f64 v[46:47], v[46:47], -0.5, v[60:61]
	v_fma_f64 v[64:65], v[50:51], s[12:13], v[46:47]
	v_fma_f64 v[46:47], v[50:51], s[4:5], v[46:47]
	;; [unrolled: 1-line block ×6, first 2 shown]
	v_add_f64 v[46:47], v[116:117], v[128:129]
	v_add_f64 v[116:117], v[84:85], -v[108:109]
	v_fma_f64 v[46:47], v[46:47], -0.5, v[60:61]
	v_fma_f64 v[60:61], v[72:73], s[4:5], v[46:47]
	v_fma_f64 v[46:47], v[72:73], s[12:13], v[46:47]
	;; [unrolled: 1-line block ×6, first 2 shown]
	v_add_f64 v[46:47], v[52:53], v[106:107]
	v_add_f64 v[60:61], v[92:93], -v[102:103]
	v_add_f64 v[46:47], v[46:47], v[104:105]
	v_add_f64 v[46:47], v[46:47], v[84:85]
	;; [unrolled: 1-line block ×4, first 2 shown]
	v_fma_f64 v[46:47], v[46:47], -0.5, v[52:53]
	v_fma_f64 v[78:79], v[60:61], s[4:5], v[46:47]
	v_fma_f64 v[46:47], v[60:61], s[12:13], v[46:47]
	;; [unrolled: 1-line block ×6, first 2 shown]
	v_add_f64 v[46:47], v[106:107], v[108:109]
	v_add_f64 v[114:115], v[104:105], -v[106:107]
	v_add_f64 v[104:105], v[104:105], -v[84:85]
	v_add_f64 v[84:85], v[92:93], -v[94:95]
	v_fma_f64 v[46:47], v[46:47], -0.5, v[52:53]
	v_add_f64 v[116:117], v[114:115], v[116:117]
	v_fma_f64 v[52:53], v[80:81], s[12:13], v[46:47]
	v_fma_f64 v[46:47], v[80:81], s[4:5], v[46:47]
	;; [unrolled: 1-line block ×4, first 2 shown]
	v_add_f64 v[60:61], v[106:107], -v[108:109]
	v_add_f64 v[106:107], v[102:103], -v[96:97]
	v_fma_f64 v[114:115], v[116:117], s[10:11], v[52:53]
	v_fma_f64 v[118:119], v[116:117], s[10:11], v[46:47]
	v_add_f64 v[46:47], v[54:55], v[92:93]
	v_add_f64 v[106:107], v[84:85], v[106:107]
	;; [unrolled: 1-line block ×6, first 2 shown]
	v_fma_f64 v[46:47], v[46:47], -0.5, v[54:55]
	v_fma_f64 v[80:81], v[60:61], s[12:13], v[46:47]
	v_fma_f64 v[46:47], v[60:61], s[4:5], v[46:47]
	;; [unrolled: 1-line block ×6, first 2 shown]
	v_add_f64 v[46:47], v[92:93], v[102:103]
	v_add_f64 v[92:93], v[94:95], -v[92:93]
	v_add_f64 v[94:95], v[96:97], -v[102:103]
	;; [unrolled: 1-line block ×4, first 2 shown]
	v_fma_f64 v[46:47], v[46:47], -0.5, v[54:55]
	v_add_f64 v[92:93], v[92:93], v[94:95]
	v_add_f64 v[94:95], v[34:35], -v[38:39]
	v_add_f64 v[96:97], v[96:97], v[102:103]
	v_fma_f64 v[54:55], v[104:105], s[4:5], v[46:47]
	v_fma_f64 v[46:47], v[104:105], s[12:13], v[46:47]
	;; [unrolled: 1-line block ×6, first 2 shown]
	v_add_f64 v[46:47], v[20:21], v[86:87]
	v_add_f64 v[54:55], v[30:31], -v[26:27]
	v_add_f64 v[46:47], v[46:47], v[88:89]
	v_add_f64 v[46:47], v[46:47], v[90:91]
	;; [unrolled: 1-line block ×4, first 2 shown]
	v_fma_f64 v[46:47], v[46:47], -0.5, v[20:21]
	v_fma_f64 v[60:61], v[54:55], s[4:5], v[46:47]
	v_fma_f64 v[46:47], v[54:55], s[12:13], v[46:47]
	v_fma_f64 v[60:61], v[94:95], s[6:7], v[60:61]
	v_fma_f64 v[46:47], v[94:95], s[14:15], v[46:47]
	v_fma_f64 v[102:103], v[96:97], s[10:11], v[60:61]
	v_fma_f64 v[106:107], v[96:97], s[10:11], v[46:47]
	v_add_f64 v[46:47], v[86:87], v[42:43]
	v_add_f64 v[60:61], v[88:89], -v[86:87]
	v_add_f64 v[96:97], v[90:91], -v[42:43]
	v_add_f64 v[42:43], v[86:87], -v[42:43]
	v_add_f64 v[86:87], v[30:31], -v[34:35]
	v_fma_f64 v[46:47], v[46:47], -0.5, v[20:21]
	v_add_f64 v[60:61], v[60:61], v[96:97]
	v_fma_f64 v[20:21], v[94:95], s[12:13], v[46:47]
	v_fma_f64 v[46:47], v[94:95], s[4:5], v[46:47]
	v_fma_f64 v[20:21], v[54:55], s[6:7], v[20:21]
	v_fma_f64 v[46:47], v[54:55], s[14:15], v[46:47]
	v_fma_f64 v[20:21], v[60:61], s[10:11], v[20:21]
	v_fma_f64 v[122:123], v[60:61], s[10:11], v[46:47]
	v_add_f64 v[46:47], v[22:23], v[30:31]
	v_add_f64 v[60:61], v[88:89], -v[90:91]
	v_add_f64 v[88:89], v[26:27], -v[38:39]
	v_add_f64 v[46:47], v[46:47], v[34:35]
	v_add_f64 v[86:87], v[86:87], v[88:89]
	;; [unrolled: 1-line block ×5, first 2 shown]
	v_fma_f64 v[46:47], v[46:47], -0.5, v[22:23]
	v_fma_f64 v[54:55], v[42:43], s[12:13], v[46:47]
	v_fma_f64 v[46:47], v[42:43], s[4:5], v[46:47]
	;; [unrolled: 1-line block ×6, first 2 shown]
	v_add_f64 v[46:47], v[30:31], v[26:27]
	v_add_f64 v[30:31], v[34:35], -v[30:31]
	v_add_f64 v[26:27], v[38:39], -v[26:27]
	v_fma_f64 v[46:47], v[46:47], -0.5, v[22:23]
	v_add_f64 v[26:27], v[30:31], v[26:27]
	v_fma_f64 v[22:23], v[60:61], s[4:5], v[46:47]
	v_fma_f64 v[30:31], v[60:61], s[12:13], v[46:47]
	;; [unrolled: 1-line block ×6, first 2 shown]
	v_lshrrev_b32_e32 v26, 4, v98
	v_mul_u32_u24_e32 v26, 0x50, v26
	v_or_b32_e32 v26, v26, v99
	v_lshl_add_u32 v26, v26, 4, 0
	ds_write_b128 v26, v[56:59]
	ds_write_b128 v26, v[62:65] offset:256
	ds_write_b128 v26, v[74:77] offset:512
	ds_write_b128 v26, v[70:73] offset:768
	ds_write_b128 v26, v[66:69] offset:1024
	v_lshrrev_b32_e32 v26, 4, v112
	v_mul_u32_u24_e32 v26, 0x50, v26
	v_or_b32_e32 v26, v26, v99
	v_lshl_add_u32 v26, v26, 4, 0
	ds_write_b128 v26, v[50:53]
	ds_write_b128 v26, v[82:85] offset:256
	ds_write_b128 v26, v[114:117] offset:512
	ds_write_b128 v26, v[118:121] offset:768
	ds_write_b128 v26, v[78:81] offset:1024
	v_lshrrev_b32_e32 v26, 4, v111
	v_mul_u32_u24_e32 v26, 0x50, v26
	v_or_b32_e32 v26, v26, v99
	v_lshl_add_u32 v26, v26, 4, 0
	ds_write_b128 v26, v[92:95]
	ds_write_b128 v26, v[102:105] offset:256
	ds_write_b128 v26, v[20:23] offset:512
	ds_write_b128 v26, v[122:125] offset:768
	ds_write_b128 v26, v[106:109] offset:1024
	s_and_saveexec_b64 s[16:17], vcc
	s_cbranch_execz .LBB0_21
; %bb.20:
	v_mov_b32_e32 v20, s9
	v_add_co_u32_e32 v21, vcc, s8, v113
	v_addc_co_u32_e32 v22, vcc, 0, v20, vcc
	v_add_co_u32_e32 v20, vcc, 48, v21
	v_addc_co_u32_e32 v21, vcc, 0, v22, vcc
	global_load_dwordx2 v[20:21], v[20:21], off offset:8
	v_mul_f64 v[26:27], v[8:9], v[32:33]
	v_mul_f64 v[32:33], v[10:11], v[32:33]
	;; [unrolled: 1-line block ×6, first 2 shown]
	v_fma_f64 v[10:11], v[10:11], v[28:29], -v[26:27]
	v_fma_f64 v[8:9], v[8:9], v[28:29], v[32:33]
	v_fma_f64 v[14:15], v[14:15], v[36:37], -v[22:23]
	v_fma_f64 v[12:13], v[12:13], v[36:37], v[30:31]
	v_fma_f64 v[16:17], v[16:17], v[44:45], v[34:35]
	v_fma_f64 v[18:19], v[18:19], v[44:45], -v[38:39]
	v_add_f64 v[22:23], v[2:3], v[10:11]
	v_add_f64 v[30:31], v[0:1], v[8:9]
	v_add_f64 v[26:27], v[14:15], -v[10:11]
	v_add_f64 v[38:39], v[12:13], -v[8:9]
	v_add_f64 v[40:41], v[12:13], v[16:17]
	v_add_f64 v[36:37], v[14:15], v[18:19]
	v_add_f64 v[28:29], v[12:13], -v[16:17]
	v_add_f64 v[34:35], v[10:11], -v[14:15]
	;; [unrolled: 4-line block ×3, first 2 shown]
	s_waitcnt vmcnt(0)
	v_mul_f64 v[32:33], v[4:5], v[20:21]
	v_mul_f64 v[20:21], v[6:7], v[20:21]
	v_fma_f64 v[32:33], v[6:7], v[24:25], -v[32:33]
	v_fma_f64 v[4:5], v[4:5], v[24:25], v[20:21]
	v_add_f64 v[6:7], v[22:23], v[18:19]
	v_fma_f64 v[20:21], v[36:37], -0.5, v[2:3]
	v_fma_f64 v[22:23], v[40:41], -0.5, v[0:1]
	v_add_f64 v[24:25], v[30:31], v[16:17]
	v_add_f64 v[36:37], v[10:11], v[32:33]
	v_add_f64 v[40:41], v[8:9], -v[4:5]
	v_add_f64 v[8:9], v[8:9], v[4:5]
	v_add_f64 v[30:31], v[18:19], -v[32:33]
	v_add_f64 v[42:43], v[16:17], -v[4:5]
	;; [unrolled: 1-line block ×5, first 2 shown]
	v_fma_f64 v[2:3], v[36:37], -0.5, v[2:3]
	v_add_f64 v[4:5], v[24:25], v[4:5]
	v_fma_f64 v[0:1], v[8:9], -0.5, v[0:1]
	v_add_f64 v[24:25], v[26:27], v[30:31]
	v_fma_f64 v[8:9], v[40:41], s[4:5], v[20:21]
	v_fma_f64 v[20:21], v[40:41], s[12:13], v[20:21]
	v_add_f64 v[30:31], v[12:13], v[16:17]
	v_fma_f64 v[12:13], v[10:11], s[4:5], v[22:23]
	v_add_f64 v[6:7], v[6:7], v[32:33]
	v_fma_f64 v[16:17], v[28:29], s[12:13], v[2:3]
	v_fma_f64 v[2:3], v[28:29], s[4:5], v[2:3]
	;; [unrolled: 1-line block ×5, first 2 shown]
	v_add_f64 v[18:19], v[34:35], v[18:19]
	v_fma_f64 v[8:9], v[28:29], s[6:7], v[8:9]
	v_fma_f64 v[20:21], v[28:29], s[14:15], v[20:21]
	;; [unrolled: 1-line block ×3, first 2 shown]
	v_add_f64 v[26:27], v[38:39], v[42:43]
	v_fma_f64 v[16:17], v[40:41], s[6:7], v[16:17]
	v_fma_f64 v[28:29], v[40:41], s[14:15], v[2:3]
	;; [unrolled: 1-line block ×13, first 2 shown]
	ds_write_b128 v110, v[4:7] offset:19200
	ds_write_b128 v110, v[8:11] offset:19456
	;; [unrolled: 1-line block ×5, first 2 shown]
.LBB0_21:
	s_or_b64 exec, exec, s[16:17]
	v_mul_u32_u24_e32 v0, 15, v98
	v_lshlrev_b32_e32 v60, 4, v0
	s_waitcnt lgkmcnt(0)
	s_barrier
	global_load_dwordx4 v[0:3], v60, s[8:9] offset:1024
	global_load_dwordx4 v[4:7], v60, s[8:9] offset:1040
	;; [unrolled: 1-line block ×15, first 2 shown]
	ds_read_b128 v[60:63], v110
	ds_read_b128 v[64:67], v110 offset:1280
	ds_read_b128 v[68:71], v110 offset:2560
	;; [unrolled: 1-line block ×11, first 2 shown]
	s_mov_b32 s4, 0x667f3bcd
	s_mov_b32 s5, 0xbfe6a09e
	;; [unrolled: 1-line block ×12, first 2 shown]
	s_waitcnt vmcnt(14) lgkmcnt(10)
	v_mul_f64 v[96:97], v[66:67], v[2:3]
	s_waitcnt vmcnt(13) lgkmcnt(9)
	v_mul_f64 v[115:116], v[70:71], v[6:7]
	;; [unrolled: 2-line block ×3, first 2 shown]
	v_mul_f64 v[6:7], v[68:69], v[6:7]
	v_mul_f64 v[10:11], v[72:73], v[10:11]
	;; [unrolled: 1-line block ×3, first 2 shown]
	v_fma_f64 v[96:97], v[64:65], v[0:1], v[96:97]
	v_fma_f64 v[68:69], v[68:69], v[4:5], v[115:116]
	s_waitcnt vmcnt(11) lgkmcnt(7)
	v_mul_f64 v[115:116], v[78:79], v[14:15]
	v_mul_f64 v[14:15], v[76:77], v[14:15]
	v_fma_f64 v[72:73], v[72:73], v[8:9], v[117:118]
	s_waitcnt vmcnt(10) lgkmcnt(6)
	v_mul_f64 v[117:118], v[82:83], v[18:19]
	v_mul_f64 v[18:19], v[80:81], v[18:19]
	v_fma_f64 v[119:120], v[66:67], v[0:1], -v[2:3]
	ds_read_b128 v[0:3], v110 offset:15360
	ds_read_b128 v[64:67], v110 offset:16640
	v_fma_f64 v[70:71], v[70:71], v[4:5], -v[6:7]
	v_fma_f64 v[76:77], v[76:77], v[12:13], v[115:116]
	v_fma_f64 v[12:13], v[78:79], v[12:13], -v[14:15]
	s_waitcnt vmcnt(9) lgkmcnt(7)
	v_mul_f64 v[14:15], v[86:87], v[22:23]
	v_mul_f64 v[22:23], v[84:85], v[22:23]
	s_waitcnt vmcnt(8) lgkmcnt(6)
	v_mul_f64 v[78:79], v[90:91], v[26:27]
	v_mul_f64 v[26:27], v[88:89], v[26:27]
	v_fma_f64 v[80:81], v[80:81], v[16:17], v[117:118]
	v_fma_f64 v[16:17], v[82:83], v[16:17], -v[18:19]
	s_waitcnt vmcnt(7) lgkmcnt(5)
	v_mul_f64 v[18:19], v[94:95], v[30:31]
	v_mul_f64 v[30:31], v[92:93], v[30:31]
	v_fma_f64 v[74:75], v[74:75], v[8:9], -v[10:11]
	ds_read_b128 v[4:7], v110 offset:17920
	ds_read_b128 v[8:11], v110 offset:19200
	s_waitcnt vmcnt(6) lgkmcnt(6)
	v_mul_f64 v[82:83], v[104:105], v[34:35]
	v_mul_f64 v[34:35], v[102:103], v[34:35]
	v_fma_f64 v[14:15], v[84:85], v[20:21], v[14:15]
	v_fma_f64 v[20:21], v[86:87], v[20:21], -v[22:23]
	s_waitcnt vmcnt(5) lgkmcnt(5)
	v_mul_f64 v[22:23], v[108:109], v[38:39]
	v_mul_f64 v[38:39], v[106:107], v[38:39]
	v_fma_f64 v[78:79], v[88:89], v[24:25], v[78:79]
	v_fma_f64 v[24:25], v[90:91], v[24:25], -v[26:27]
	;; [unrolled: 5-line block ×4, first 2 shown]
	v_fma_f64 v[22:23], v[106:107], v[36:37], v[22:23]
	v_fma_f64 v[34:35], v[108:109], v[36:37], -v[38:39]
	v_fma_f64 v[0:1], v[0:1], v[44:45], v[26:27]
	v_fma_f64 v[2:3], v[2:3], v[44:45], -v[46:47]
	;; [unrolled: 2-line block ×3, first 2 shown]
	v_mul_f64 v[84:85], v[113:114], v[42:43]
	v_mul_f64 v[42:43], v[111:112], v[42:43]
	;; [unrolled: 1-line block ×4, first 2 shown]
	v_add_f64 v[18:19], v[60:61], -v[18:19]
	v_add_f64 v[28:29], v[62:63], -v[28:29]
	;; [unrolled: 1-line block ×8, first 2 shown]
	s_waitcnt vmcnt(0) lgkmcnt(0)
	v_mul_f64 v[88:89], v[10:11], v[58:59]
	v_mul_f64 v[58:59], v[8:9], v[58:59]
	v_fma_f64 v[36:37], v[111:112], v[40:41], v[84:85]
	v_fma_f64 v[38:39], v[113:114], v[40:41], -v[42:43]
	v_fma_f64 v[26:27], v[64:65], v[48:49], v[86:87]
	v_fma_f64 v[40:41], v[66:67], v[48:49], -v[50:51]
	v_fma_f64 v[34:35], v[60:61], 2.0, -v[18:19]
	v_fma_f64 v[42:43], v[62:63], 2.0, -v[28:29]
	;; [unrolled: 1-line block ×8, first 2 shown]
	v_fma_f64 v[8:9], v[8:9], v[56:57], v[88:89]
	v_fma_f64 v[10:11], v[10:11], v[56:57], -v[58:59]
	v_add_f64 v[44:45], v[34:35], -v[44:45]
	v_add_f64 v[12:13], v[42:43], -v[12:13]
	;; [unrolled: 1-line block ×12, first 2 shown]
	v_add_f64 v[2:3], v[18:19], v[2:3]
	v_add_f64 v[0:1], v[28:29], -v[0:1]
	v_add_f64 v[6:7], v[22:23], v[6:7]
	v_add_f64 v[4:5], v[30:31], -v[4:5]
	v_fma_f64 v[34:35], v[34:35], 2.0, -v[44:45]
	v_fma_f64 v[42:43], v[42:43], 2.0, -v[12:13]
	;; [unrolled: 1-line block ×8, first 2 shown]
	v_add_f64 v[40:41], v[50:51], v[40:41]
	v_add_f64 v[26:27], v[32:33], -v[26:27]
	v_add_f64 v[10:11], v[36:37], v[10:11]
	v_add_f64 v[8:9], v[38:39], -v[8:9]
	v_add_f64 v[68:69], v[34:35], -v[46:47]
	v_add_f64 v[70:71], v[42:43], -v[48:49]
	v_fma_f64 v[46:47], v[6:7], s[6:7], v[2:3]
	v_fma_f64 v[48:49], v[4:5], s[6:7], v[0:1]
	v_fma_f64 v[52:53], v[96:97], 2.0, -v[50:51]
	v_fma_f64 v[54:55], v[119:120], 2.0, -v[32:33]
	;; [unrolled: 1-line block ×12, first 2 shown]
	v_add_f64 v[72:73], v[44:45], v[20:21]
	v_fma_f64 v[76:77], v[4:5], s[6:7], v[46:47]
	v_fma_f64 v[78:79], v[6:7], s[4:5], v[48:49]
	v_add_f64 v[56:57], v[52:53], -v[56:57]
	v_add_f64 v[16:17], v[54:55], -v[16:17]
	;; [unrolled: 1-line block ×4, first 2 shown]
	v_fma_f64 v[64:65], v[22:23], s[4:5], v[18:19]
	v_fma_f64 v[66:67], v[30:31], s[4:5], v[28:29]
	v_fma_f64 v[20:21], v[34:35], 2.0, -v[68:69]
	v_fma_f64 v[34:35], v[44:45], 2.0, -v[72:73]
	v_fma_f64 v[4:5], v[36:37], s[4:5], v[50:51]
	v_fma_f64 v[6:7], v[38:39], s[4:5], v[32:33]
	v_fma_f64 v[44:45], v[2:3], 2.0, -v[76:77]
	v_fma_f64 v[46:47], v[0:1], 2.0, -v[78:79]
	;; [unrolled: 4-line block ×3, first 2 shown]
	v_fma_f64 v[58:59], v[58:59], 2.0, -v[62:63]
	v_fma_f64 v[60:61], v[60:61], 2.0, -v[24:25]
	v_add_f64 v[74:75], v[12:13], -v[14:15]
	v_add_f64 v[62:63], v[16:17], -v[62:63]
	v_fma_f64 v[64:65], v[30:31], s[6:7], v[64:65]
	v_fma_f64 v[66:67], v[22:23], s[4:5], v[66:67]
	;; [unrolled: 1-line block ×6, first 2 shown]
	v_add_f64 v[48:49], v[52:53], -v[58:59]
	v_add_f64 v[58:59], v[54:55], -v[60:61]
	v_add_f64 v[60:61], v[56:57], v[24:25]
	v_fma_f64 v[22:23], v[42:43], 2.0, -v[70:71]
	v_fma_f64 v[42:43], v[12:13], 2.0, -v[74:75]
	v_fma_f64 v[8:9], v[16:17], 2.0, -v[62:63]
	v_fma_f64 v[30:31], v[18:19], 2.0, -v[64:65]
	v_fma_f64 v[28:29], v[28:29], 2.0, -v[66:67]
	v_fma_f64 v[6:7], v[50:51], 2.0, -v[38:39]
	v_fma_f64 v[4:5], v[32:33], 2.0, -v[36:37]
	v_fma_f64 v[14:15], v[40:41], 2.0, -v[80:81]
	v_fma_f64 v[12:13], v[26:27], 2.0, -v[82:83]
	v_fma_f64 v[10:11], v[56:57], 2.0, -v[60:61]
	v_fma_f64 v[26:27], v[8:9], s[4:5], v[42:43]
	v_fma_f64 v[0:1], v[52:53], 2.0, -v[48:49]
	v_fma_f64 v[2:3], v[54:55], 2.0, -v[58:59]
	v_fma_f64 v[16:17], v[6:7], s[8:9], v[30:31]
	v_fma_f64 v[18:19], v[4:5], s[8:9], v[28:29]
	;; [unrolled: 1-line block ×6, first 2 shown]
	v_add_f64 v[0:1], v[20:21], -v[0:1]
	v_add_f64 v[2:3], v[22:23], -v[2:3]
	v_fma_f64 v[4:5], v[4:5], s[10:11], v[16:17]
	v_fma_f64 v[6:7], v[6:7], s[12:13], v[18:19]
	;; [unrolled: 1-line block ×5, first 2 shown]
	v_fma_f64 v[26:27], v[42:43], 2.0, -v[10:11]
	v_fma_f64 v[40:41], v[38:39], s[10:11], v[64:65]
	v_fma_f64 v[42:43], v[36:37], s[10:11], v[66:67]
	v_fma_f64 v[16:17], v[20:21], 2.0, -v[0:1]
	v_fma_f64 v[18:19], v[22:23], 2.0, -v[2:3]
	;; [unrolled: 1-line block ×6, first 2 shown]
	v_fma_f64 v[44:45], v[60:61], s[6:7], v[72:73]
	v_fma_f64 v[46:47], v[62:63], s[6:7], v[74:75]
	;; [unrolled: 1-line block ×4, first 2 shown]
	v_fma_f64 v[24:25], v[34:35], 2.0, -v[8:9]
	v_add_f64 v[32:33], v[68:69], v[58:59]
	v_add_f64 v[34:35], v[70:71], -v[48:49]
	v_fma_f64 v[36:37], v[36:37], s[14:15], v[40:41]
	v_fma_f64 v[38:39], v[38:39], s[8:9], v[42:43]
	;; [unrolled: 1-line block ×6, first 2 shown]
	v_fma_f64 v[48:49], v[68:69], 2.0, -v[32:33]
	v_fma_f64 v[50:51], v[70:71], 2.0, -v[34:35]
	;; [unrolled: 1-line block ×8, first 2 shown]
	s_barrier
	ds_write_b128 v110, v[16:19]
	ds_write_b128 v110, v[20:23] offset:1280
	ds_write_b128 v110, v[24:27] offset:2560
	ds_write_b128 v110, v[28:31] offset:3840
	ds_write_b128 v110, v[48:51] offset:5120
	ds_write_b128 v110, v[52:55] offset:6400
	ds_write_b128 v110, v[56:59] offset:7680
	ds_write_b128 v110, v[60:63] offset:8960
	ds_write_b128 v110, v[0:3] offset:10240
	ds_write_b128 v110, v[4:7] offset:11520
	ds_write_b128 v110, v[8:11] offset:12800
	ds_write_b128 v110, v[12:15] offset:14080
	ds_write_b128 v110, v[32:35] offset:15360
	ds_write_b128 v110, v[36:39] offset:16640
	ds_write_b128 v110, v[40:43] offset:17920
	ds_write_b128 v110, v[44:47] offset:19200
	s_waitcnt lgkmcnt(0)
	s_barrier
	s_and_saveexec_b64 s[4:5], s[0:1]
	s_cbranch_execz .LBB0_23
; %bb.22:
	v_lshl_add_u32 v10, v98, 4, 0
	v_mov_b32_e32 v99, 0
	ds_read_b128 v[0:3], v10
	v_mov_b32_e32 v4, s3
	v_add_co_u32_e32 v11, vcc, s2, v100
	v_addc_co_u32_e32 v12, vcc, v4, v101, vcc
	v_lshlrev_b64 v[4:5], 4, v[98:99]
	v_add_co_u32_e32 v8, vcc, v11, v4
	v_addc_co_u32_e32 v9, vcc, v12, v5, vcc
	ds_read_b128 v[4:7], v10 offset:1280
	s_waitcnt lgkmcnt(1)
	global_store_dwordx4 v[8:9], v[0:3], off
	s_nop 0
	v_add_u32_e32 v0, 0x50, v98
	v_mov_b32_e32 v1, v99
	v_lshlrev_b64 v[0:1], 4, v[0:1]
	v_add_co_u32_e32 v0, vcc, v11, v0
	v_addc_co_u32_e32 v1, vcc, v12, v1, vcc
	s_waitcnt lgkmcnt(0)
	global_store_dwordx4 v[0:1], v[4:7], off
	ds_read_b128 v[0:3], v10 offset:2560
	v_add_u32_e32 v4, 0xa0, v98
	v_mov_b32_e32 v5, v99
	v_lshlrev_b64 v[4:5], 4, v[4:5]
	v_add_co_u32_e32 v8, vcc, v11, v4
	v_addc_co_u32_e32 v9, vcc, v12, v5, vcc
	ds_read_b128 v[4:7], v10 offset:3840
	s_waitcnt lgkmcnt(1)
	global_store_dwordx4 v[8:9], v[0:3], off
	s_nop 0
	v_add_u32_e32 v0, 0xf0, v98
	v_mov_b32_e32 v1, v99
	v_lshlrev_b64 v[0:1], 4, v[0:1]
	v_add_co_u32_e32 v0, vcc, v11, v0
	v_addc_co_u32_e32 v1, vcc, v12, v1, vcc
	s_waitcnt lgkmcnt(0)
	global_store_dwordx4 v[0:1], v[4:7], off
	ds_read_b128 v[0:3], v10 offset:5120
	v_add_u32_e32 v4, 0x140, v98
	v_mov_b32_e32 v5, v99
	v_lshlrev_b64 v[4:5], 4, v[4:5]
	v_add_co_u32_e32 v8, vcc, v11, v4
	v_addc_co_u32_e32 v9, vcc, v12, v5, vcc
	ds_read_b128 v[4:7], v10 offset:6400
	s_waitcnt lgkmcnt(1)
	global_store_dwordx4 v[8:9], v[0:3], off
	s_nop 0
	v_add_u32_e32 v0, 0x190, v98
	v_mov_b32_e32 v1, v99
	v_lshlrev_b64 v[0:1], 4, v[0:1]
	v_add_co_u32_e32 v0, vcc, v11, v0
	v_addc_co_u32_e32 v1, vcc, v12, v1, vcc
	s_waitcnt lgkmcnt(0)
	global_store_dwordx4 v[0:1], v[4:7], off
	ds_read_b128 v[0:3], v10 offset:7680
	v_add_u32_e32 v4, 0x1e0, v98
	v_mov_b32_e32 v5, v99
	v_lshlrev_b64 v[4:5], 4, v[4:5]
	v_add_co_u32_e32 v8, vcc, v11, v4
	v_addc_co_u32_e32 v9, vcc, v12, v5, vcc
	ds_read_b128 v[4:7], v10 offset:8960
	s_waitcnt lgkmcnt(1)
	global_store_dwordx4 v[8:9], v[0:3], off
	s_nop 0
	v_add_u32_e32 v0, 0x230, v98
	v_mov_b32_e32 v1, v99
	v_lshlrev_b64 v[0:1], 4, v[0:1]
	v_add_co_u32_e32 v0, vcc, v11, v0
	v_addc_co_u32_e32 v1, vcc, v12, v1, vcc
	s_waitcnt lgkmcnt(0)
	global_store_dwordx4 v[0:1], v[4:7], off
	ds_read_b128 v[0:3], v10 offset:10240
	v_add_u32_e32 v4, 0x280, v98
	v_mov_b32_e32 v5, v99
	v_lshlrev_b64 v[4:5], 4, v[4:5]
	v_add_co_u32_e32 v8, vcc, v11, v4
	v_addc_co_u32_e32 v9, vcc, v12, v5, vcc
	ds_read_b128 v[4:7], v10 offset:11520
	s_waitcnt lgkmcnt(1)
	global_store_dwordx4 v[8:9], v[0:3], off
	s_nop 0
	v_add_u32_e32 v0, 0x2d0, v98
	v_mov_b32_e32 v1, v99
	v_lshlrev_b64 v[0:1], 4, v[0:1]
	v_add_co_u32_e32 v0, vcc, v11, v0
	v_addc_co_u32_e32 v1, vcc, v12, v1, vcc
	s_waitcnt lgkmcnt(0)
	global_store_dwordx4 v[0:1], v[4:7], off
	ds_read_b128 v[0:3], v10 offset:12800
	v_add_u32_e32 v4, 0x320, v98
	v_mov_b32_e32 v5, v99
	v_lshlrev_b64 v[4:5], 4, v[4:5]
	v_add_co_u32_e32 v8, vcc, v11, v4
	v_addc_co_u32_e32 v9, vcc, v12, v5, vcc
	ds_read_b128 v[4:7], v10 offset:14080
	s_waitcnt lgkmcnt(1)
	global_store_dwordx4 v[8:9], v[0:3], off
	s_nop 0
	v_add_u32_e32 v0, 0x370, v98
	v_mov_b32_e32 v1, v99
	v_lshlrev_b64 v[0:1], 4, v[0:1]
	v_add_co_u32_e32 v0, vcc, v11, v0
	v_addc_co_u32_e32 v1, vcc, v12, v1, vcc
	s_waitcnt lgkmcnt(0)
	global_store_dwordx4 v[0:1], v[4:7], off
	ds_read_b128 v[0:3], v10 offset:15360
	v_add_u32_e32 v4, 0x3c0, v98
	v_mov_b32_e32 v5, v99
	v_lshlrev_b64 v[4:5], 4, v[4:5]
	v_add_co_u32_e32 v8, vcc, v11, v4
	v_addc_co_u32_e32 v9, vcc, v12, v5, vcc
	ds_read_b128 v[4:7], v10 offset:16640
	s_waitcnt lgkmcnt(1)
	global_store_dwordx4 v[8:9], v[0:3], off
	s_nop 0
	v_add_u32_e32 v0, 0x410, v98
	v_mov_b32_e32 v1, v99
	v_lshlrev_b64 v[0:1], 4, v[0:1]
	v_add_co_u32_e32 v0, vcc, v11, v0
	v_addc_co_u32_e32 v1, vcc, v12, v1, vcc
	s_waitcnt lgkmcnt(0)
	global_store_dwordx4 v[0:1], v[4:7], off
	ds_read_b128 v[0:3], v10 offset:17920
	v_add_u32_e32 v4, 0x460, v98
	v_mov_b32_e32 v5, v99
	v_lshlrev_b64 v[4:5], 4, v[4:5]
	v_add_u32_e32 v98, 0x4b0, v98
	v_add_co_u32_e32 v8, vcc, v11, v4
	v_addc_co_u32_e32 v9, vcc, v12, v5, vcc
	ds_read_b128 v[4:7], v10 offset:19200
	s_waitcnt lgkmcnt(1)
	global_store_dwordx4 v[8:9], v[0:3], off
	s_nop 0
	v_lshlrev_b64 v[0:1], 4, v[98:99]
	v_add_co_u32_e32 v0, vcc, v11, v0
	v_addc_co_u32_e32 v1, vcc, v12, v1, vcc
	s_waitcnt lgkmcnt(0)
	global_store_dwordx4 v[0:1], v[4:7], off
.LBB0_23:
	s_endpgm
	.section	.rodata,"a",@progbits
	.p2align	6, 0x0
	.amdhsa_kernel fft_rtc_back_len1280_factors_16_5_16_wgs_80_tpt_80_halfLds_dp_ip_CI_unitstride_sbrr_C2R_dirReg
		.amdhsa_group_segment_fixed_size 0
		.amdhsa_private_segment_fixed_size 0
		.amdhsa_kernarg_size 88
		.amdhsa_user_sgpr_count 6
		.amdhsa_user_sgpr_private_segment_buffer 1
		.amdhsa_user_sgpr_dispatch_ptr 0
		.amdhsa_user_sgpr_queue_ptr 0
		.amdhsa_user_sgpr_kernarg_segment_ptr 1
		.amdhsa_user_sgpr_dispatch_id 0
		.amdhsa_user_sgpr_flat_scratch_init 0
		.amdhsa_user_sgpr_private_segment_size 0
		.amdhsa_uses_dynamic_stack 0
		.amdhsa_system_sgpr_private_segment_wavefront_offset 0
		.amdhsa_system_sgpr_workgroup_id_x 1
		.amdhsa_system_sgpr_workgroup_id_y 0
		.amdhsa_system_sgpr_workgroup_id_z 0
		.amdhsa_system_sgpr_workgroup_info 0
		.amdhsa_system_vgpr_workitem_id 0
		.amdhsa_next_free_vgpr 130
		.amdhsa_next_free_sgpr 22
		.amdhsa_reserve_vcc 1
		.amdhsa_reserve_flat_scratch 0
		.amdhsa_float_round_mode_32 0
		.amdhsa_float_round_mode_16_64 0
		.amdhsa_float_denorm_mode_32 3
		.amdhsa_float_denorm_mode_16_64 3
		.amdhsa_dx10_clamp 1
		.amdhsa_ieee_mode 1
		.amdhsa_fp16_overflow 0
		.amdhsa_exception_fp_ieee_invalid_op 0
		.amdhsa_exception_fp_denorm_src 0
		.amdhsa_exception_fp_ieee_div_zero 0
		.amdhsa_exception_fp_ieee_overflow 0
		.amdhsa_exception_fp_ieee_underflow 0
		.amdhsa_exception_fp_ieee_inexact 0
		.amdhsa_exception_int_div_zero 0
	.end_amdhsa_kernel
	.text
.Lfunc_end0:
	.size	fft_rtc_back_len1280_factors_16_5_16_wgs_80_tpt_80_halfLds_dp_ip_CI_unitstride_sbrr_C2R_dirReg, .Lfunc_end0-fft_rtc_back_len1280_factors_16_5_16_wgs_80_tpt_80_halfLds_dp_ip_CI_unitstride_sbrr_C2R_dirReg
                                        ; -- End function
	.section	.AMDGPU.csdata,"",@progbits
; Kernel info:
; codeLenInByte = 10560
; NumSgprs: 26
; NumVgprs: 130
; ScratchSize: 0
; MemoryBound: 0
; FloatMode: 240
; IeeeMode: 1
; LDSByteSize: 0 bytes/workgroup (compile time only)
; SGPRBlocks: 3
; VGPRBlocks: 32
; NumSGPRsForWavesPerEU: 26
; NumVGPRsForWavesPerEU: 130
; Occupancy: 1
; WaveLimiterHint : 1
; COMPUTE_PGM_RSRC2:SCRATCH_EN: 0
; COMPUTE_PGM_RSRC2:USER_SGPR: 6
; COMPUTE_PGM_RSRC2:TRAP_HANDLER: 0
; COMPUTE_PGM_RSRC2:TGID_X_EN: 1
; COMPUTE_PGM_RSRC2:TGID_Y_EN: 0
; COMPUTE_PGM_RSRC2:TGID_Z_EN: 0
; COMPUTE_PGM_RSRC2:TIDIG_COMP_CNT: 0
	.type	__hip_cuid_b1ea68f2dfdd351a,@object ; @__hip_cuid_b1ea68f2dfdd351a
	.section	.bss,"aw",@nobits
	.globl	__hip_cuid_b1ea68f2dfdd351a
__hip_cuid_b1ea68f2dfdd351a:
	.byte	0                               ; 0x0
	.size	__hip_cuid_b1ea68f2dfdd351a, 1

	.ident	"AMD clang version 19.0.0git (https://github.com/RadeonOpenCompute/llvm-project roc-6.4.0 25133 c7fe45cf4b819c5991fe208aaa96edf142730f1d)"
	.section	".note.GNU-stack","",@progbits
	.addrsig
	.addrsig_sym __hip_cuid_b1ea68f2dfdd351a
	.amdgpu_metadata
---
amdhsa.kernels:
  - .args:
      - .actual_access:  read_only
        .address_space:  global
        .offset:         0
        .size:           8
        .value_kind:     global_buffer
      - .offset:         8
        .size:           8
        .value_kind:     by_value
      - .actual_access:  read_only
        .address_space:  global
        .offset:         16
        .size:           8
        .value_kind:     global_buffer
      - .actual_access:  read_only
        .address_space:  global
        .offset:         24
        .size:           8
        .value_kind:     global_buffer
      - .offset:         32
        .size:           8
        .value_kind:     by_value
      - .actual_access:  read_only
        .address_space:  global
        .offset:         40
        .size:           8
        .value_kind:     global_buffer
      - .actual_access:  read_only
        .address_space:  global
        .offset:         48
        .size:           8
        .value_kind:     global_buffer
      - .offset:         56
        .size:           4
        .value_kind:     by_value
      - .actual_access:  read_only
        .address_space:  global
        .offset:         64
        .size:           8
        .value_kind:     global_buffer
      - .actual_access:  read_only
        .address_space:  global
        .offset:         72
        .size:           8
        .value_kind:     global_buffer
      - .address_space:  global
        .offset:         80
        .size:           8
        .value_kind:     global_buffer
    .group_segment_fixed_size: 0
    .kernarg_segment_align: 8
    .kernarg_segment_size: 88
    .language:       OpenCL C
    .language_version:
      - 2
      - 0
    .max_flat_workgroup_size: 80
    .name:           fft_rtc_back_len1280_factors_16_5_16_wgs_80_tpt_80_halfLds_dp_ip_CI_unitstride_sbrr_C2R_dirReg
    .private_segment_fixed_size: 0
    .sgpr_count:     26
    .sgpr_spill_count: 0
    .symbol:         fft_rtc_back_len1280_factors_16_5_16_wgs_80_tpt_80_halfLds_dp_ip_CI_unitstride_sbrr_C2R_dirReg.kd
    .uniform_work_group_size: 1
    .uses_dynamic_stack: false
    .vgpr_count:     130
    .vgpr_spill_count: 0
    .wavefront_size: 64
amdhsa.target:   amdgcn-amd-amdhsa--gfx906
amdhsa.version:
  - 1
  - 2
...

	.end_amdgpu_metadata
